;; amdgpu-corpus repo=zjin-lcf/HeCBench kind=compiled arch=gfx1201 opt=O3
	.amdgcn_target "amdgcn-amd-amdhsa--gfx1201"
	.amdhsa_code_object_version 6
	.text
	.protected	_Z19bit_rev_permutationPlPKlj ; -- Begin function _Z19bit_rev_permutationPlPKlj
	.globl	_Z19bit_rev_permutationPlPKlj
	.p2align	8
	.type	_Z19bit_rev_permutationPlPKlj,@function
_Z19bit_rev_permutationPlPKlj:          ; @_Z19bit_rev_permutationPlPKlj
; %bb.0:
	s_clause 0x3
	s_load_b32 s3, s[0:1], 0x18
	s_load_b32 s8, s[0:1], 0x24
	;; [unrolled: 1-line block ×3, first 2 shown]
	s_load_b128 s[4:7], s[0:1], 0x0
	s_wait_kmcnt 0x0
	s_cmp_eq_u32 s3, 1
	s_cselect_b32 s1, -1, 0
	s_and_b32 s0, s8, 0xffff
	s_lshl_b32 s3, 1, s2
	s_delay_alu instid0(SALU_CYCLE_1) | instskip(SKIP_1) | instid1(SALU_CYCLE_1)
	s_cmp_eq_u32 s3, s0
	s_cselect_b32 s3, -1, 0
	s_and_b32 s1, s1, s3
	s_delay_alu instid0(SALU_CYCLE_1)
	s_and_not1_b32 vcc_lo, exec_lo, s1
	s_cbranch_vccz .LBB0_6
; %bb.1:
	v_mad_co_u64_u32 v[3:4], null, ttmp9, s0, v[0:1]
	s_sub_co_i32 s0, 32, s2
	s_cmp_lg_u64 s[4:5], s[6:7]
	s_cselect_b32 s1, -1, 0
	v_bfrev_b32_e32 v1, v3
	s_wait_alu 0xfffe
	s_delay_alu instid0(VALU_DEP_1) | instskip(NEXT) | instid1(VALU_DEP_1)
	v_lshrrev_b32_e32 v5, s0, v1
                                        ; implicit-def: $vgpr1_vgpr2
	v_cmp_eq_u32_e32 vcc_lo, v3, v5
	v_cmp_lt_u32_e64 s0, v3, v5
	s_and_b32 s8, s1, vcc_lo
	s_mov_b32 s1, 0
	s_or_b32 s3, s0, s8
	s_mov_b32 s0, 0
	s_and_saveexec_b32 s9, s3
	s_delay_alu instid0(SALU_CYCLE_1)
	s_xor_b32 s3, exec_lo, s9
	s_cbranch_execz .LBB0_5
; %bb.2:
	v_mov_b32_e32 v4, 0
	s_xor_b32 s8, s8, -1
	s_delay_alu instid0(VALU_DEP_1) | instskip(NEXT) | instid1(VALU_DEP_1)
	v_lshlrev_b64_e32 v[7:8], 3, v[3:4]
	v_add_co_u32 v1, vcc_lo, s6, v7
	s_delay_alu instid0(VALU_DEP_1)
	v_add_co_ci_u32_e64 v2, null, s7, v8, vcc_lo
	global_load_b64 v[1:2], v[1:2], off
	s_and_saveexec_b32 s0, s8
	s_cbranch_execz .LBB0_4
; %bb.3:
	v_mov_b32_e32 v6, v4
	s_delay_alu instid0(VALU_DEP_1) | instskip(NEXT) | instid1(VALU_DEP_1)
	v_lshlrev_b64_e32 v[3:4], 3, v[5:6]
	v_add_co_u32 v3, vcc_lo, s6, v3
	s_wait_alu 0xfffd
	s_delay_alu instid0(VALU_DEP_2)
	v_add_co_ci_u32_e64 v4, null, s7, v4, vcc_lo
	v_add_co_u32 v7, vcc_lo, s4, v7
	s_wait_alu 0xfffd
	v_add_co_ci_u32_e64 v8, null, s5, v8, vcc_lo
	global_load_b64 v[9:10], v[3:4], off
	v_dual_mov_b32 v3, v5 :: v_dual_mov_b32 v4, v6
	s_wait_loadcnt 0x0
	global_store_b64 v[7:8], v[9:10], off
.LBB0_4:
	s_wait_alu 0xfffe
	s_or_b32 exec_lo, exec_lo, s0
	s_delay_alu instid0(SALU_CYCLE_1)
	s_mov_b32 s0, exec_lo
.LBB0_5:
	s_or_b32 exec_lo, exec_lo, s3
	s_wait_alu 0xfffe
	s_and_b32 vcc_lo, exec_lo, s1
	s_wait_alu 0xfffe
	s_cbranch_vccnz .LBB0_7
	s_branch .LBB0_10
.LBB0_6:
	s_mov_b32 s0, 0
                                        ; implicit-def: $vgpr1_vgpr2
                                        ; implicit-def: $vgpr3_vgpr4
	s_cbranch_execz .LBB0_10
.LBB0_7:
	s_wait_loadcnt 0x0
	v_lshlrev_b32_e32 v1, 3, v0
	s_cmp_lg_u64 s[4:5], s[6:7]
	global_load_b64 v[1:2], v1, s[6:7]
	s_cbranch_scc1 .LBB0_9
; %bb.8:
	s_wait_loadcnt 0x0
	s_wait_storecnt 0x0
	s_barrier_signal -1
	s_barrier_wait -1
	global_inv scope:SCOPE_SE
.LBB0_9:
	v_bfrev_b32_e32 v0, v0
	s_sub_co_i32 s0, 32, s2
	v_mov_b32_e32 v4, 0
	s_wait_alu 0xfffe
	s_delay_alu instid0(VALU_DEP_2)
	v_lshrrev_b32_e32 v3, s0, v0
	s_mov_b32 s0, -1
.LBB0_10:
	s_wait_alu 0xfffe
	s_and_saveexec_b32 s1, s0
	s_cbranch_execnz .LBB0_12
; %bb.11:
	s_endpgm
.LBB0_12:
	v_lshlrev_b64_e32 v[3:4], 3, v[3:4]
	s_delay_alu instid0(VALU_DEP_1) | instskip(SKIP_1) | instid1(VALU_DEP_2)
	v_add_co_u32 v3, vcc_lo, s4, v3
	s_wait_alu 0xfffd
	v_add_co_ci_u32_e64 v4, null, s5, v4, vcc_lo
	s_wait_loadcnt 0x0
	global_store_b64 v[3:4], v[1:2], off
	s_endpgm
	.section	.rodata,"a",@progbits
	.p2align	6, 0x0
	.amdhsa_kernel _Z19bit_rev_permutationPlPKlj
		.amdhsa_group_segment_fixed_size 0
		.amdhsa_private_segment_fixed_size 0
		.amdhsa_kernarg_size 280
		.amdhsa_user_sgpr_count 2
		.amdhsa_user_sgpr_dispatch_ptr 0
		.amdhsa_user_sgpr_queue_ptr 0
		.amdhsa_user_sgpr_kernarg_segment_ptr 1
		.amdhsa_user_sgpr_dispatch_id 0
		.amdhsa_user_sgpr_private_segment_size 0
		.amdhsa_wavefront_size32 1
		.amdhsa_uses_dynamic_stack 0
		.amdhsa_enable_private_segment 0
		.amdhsa_system_sgpr_workgroup_id_x 1
		.amdhsa_system_sgpr_workgroup_id_y 0
		.amdhsa_system_sgpr_workgroup_id_z 0
		.amdhsa_system_sgpr_workgroup_info 0
		.amdhsa_system_vgpr_workitem_id 0
		.amdhsa_next_free_vgpr 11
		.amdhsa_next_free_sgpr 10
		.amdhsa_reserve_vcc 1
		.amdhsa_float_round_mode_32 0
		.amdhsa_float_round_mode_16_64 0
		.amdhsa_float_denorm_mode_32 3
		.amdhsa_float_denorm_mode_16_64 3
		.amdhsa_fp16_overflow 0
		.amdhsa_workgroup_processor_mode 1
		.amdhsa_memory_ordered 1
		.amdhsa_forward_progress 1
		.amdhsa_inst_pref_size 4
		.amdhsa_round_robin_scheduling 0
		.amdhsa_exception_fp_ieee_invalid_op 0
		.amdhsa_exception_fp_denorm_src 0
		.amdhsa_exception_fp_ieee_div_zero 0
		.amdhsa_exception_fp_ieee_overflow 0
		.amdhsa_exception_fp_ieee_underflow 0
		.amdhsa_exception_fp_ieee_inexact 0
		.amdhsa_exception_int_div_zero 0
	.end_amdhsa_kernel
	.text
.Lfunc_end0:
	.size	_Z19bit_rev_permutationPlPKlj, .Lfunc_end0-_Z19bit_rev_permutationPlPKlj
                                        ; -- End function
	.set _Z19bit_rev_permutationPlPKlj.num_vgpr, 11
	.set _Z19bit_rev_permutationPlPKlj.num_agpr, 0
	.set _Z19bit_rev_permutationPlPKlj.numbered_sgpr, 10
	.set _Z19bit_rev_permutationPlPKlj.num_named_barrier, 0
	.set _Z19bit_rev_permutationPlPKlj.private_seg_size, 0
	.set _Z19bit_rev_permutationPlPKlj.uses_vcc, 1
	.set _Z19bit_rev_permutationPlPKlj.uses_flat_scratch, 0
	.set _Z19bit_rev_permutationPlPKlj.has_dyn_sized_stack, 0
	.set _Z19bit_rev_permutationPlPKlj.has_recursion, 0
	.set _Z19bit_rev_permutationPlPKlj.has_indirect_call, 0
	.section	.AMDGPU.csdata,"",@progbits
; Kernel info:
; codeLenInByte = 512
; TotalNumSgprs: 12
; NumVgprs: 11
; ScratchSize: 0
; MemoryBound: 0
; FloatMode: 240
; IeeeMode: 1
; LDSByteSize: 0 bytes/workgroup (compile time only)
; SGPRBlocks: 0
; VGPRBlocks: 1
; NumSGPRsForWavesPerEU: 12
; NumVGPRsForWavesPerEU: 11
; Occupancy: 16
; WaveLimiterHint : 0
; COMPUTE_PGM_RSRC2:SCRATCH_EN: 0
; COMPUTE_PGM_RSRC2:USER_SGPR: 2
; COMPUTE_PGM_RSRC2:TRAP_HANDLER: 0
; COMPUTE_PGM_RSRC2:TGID_X_EN: 1
; COMPUTE_PGM_RSRC2:TGID_Y_EN: 0
; COMPUTE_PGM_RSRC2:TGID_Z_EN: 0
; COMPUTE_PGM_RSRC2:TIDIG_COMP_CNT: 0
	.text
	.protected	_Z21bit_rev_permutation_zPlPKlj ; -- Begin function _Z21bit_rev_permutation_zPlPKlj
	.globl	_Z21bit_rev_permutation_zPlPKlj
	.p2align	8
	.type	_Z21bit_rev_permutation_zPlPKlj,@function
_Z21bit_rev_permutation_zPlPKlj:        ; @_Z21bit_rev_permutation_zPlPKlj
; %bb.0:
	v_and_b32_e32 v22, 31, v0
	s_clause 0x3
	s_load_b32 s3, s[0:1], 0x10
	s_load_b32 s8, s[0:1], 0x24
	;; [unrolled: 1-line block ×3, first 2 shown]
	s_load_b128 s[4:7], s[0:1], 0x0
	v_lshlrev_b32_e32 v1, 8, v0
	v_bfrev_b32_e32 v2, v22
	s_mov_b32 s1, 0
	s_delay_alu instid0(VALU_DEP_2) | instskip(NEXT) | instid1(VALU_DEP_2)
	v_and_b32_e32 v1, 0x3e000, v1
	v_lshrrev_b32_e32 v3, 24, v2
	v_lshrrev_b32_e32 v2, 27, v2
	s_delay_alu instid0(VALU_DEP_2) | instskip(NEXT) | instid1(VALU_DEP_2)
	v_add3_u32 v191, 0, v1, v3
	v_mul_u32_u24_e32 v1, 0xf8, v2
	v_mov_b32_e32 v2, 0
	s_wait_kmcnt 0x0
	s_add_co_i32 s2, s3, -5
	s_delay_alu instid0(VALU_DEP_2)
	v_add_nc_u32_e32 v17, v191, v1
	s_and_b32 s0, s8, 0xffff
	s_add_co_i32 s42, ttmp9, s41
	s_sub_co_i32 s3, 42, s3
	s_mul_i32 s8, ttmp9, s0
	s_mul_i32 s9, s41, s0
	s_lshl_b32 s10, 1, s2
	s_lshl_b32 s11, 2, s2
	;; [unrolled: 1-line block ×31, first 2 shown]
	s_mul_i32 s42, s42, s0
	s_branch .LBB1_2
.LBB1_1:                                ;   in Loop: Header=BB1_2 Depth=1
	s_wait_alu 0xfffe
	s_or_b32 exec_lo, exec_lo, s43
	v_add_nc_u32_e32 v1, s42, v0
	v_add_nc_u32_e32 v0, s9, v0
	s_delay_alu instid0(VALU_DEP_2) | instskip(NEXT) | instid1(VALU_DEP_1)
	v_lshrrev_b32_e32 v1, s2, v1
	v_cmp_ne_u32_e32 vcc_lo, 0, v1
	s_or_b32 s1, vcc_lo, s1
	s_wait_alu 0xfffe
	s_and_not1_b32 exec_lo, exec_lo, s1
	s_cbranch_execz .LBB1_69
.LBB1_2:                                ; =>This Inner Loop Header: Depth=1
	v_add_nc_u32_e32 v1, s8, v0
	s_mov_b32 s43, exec_lo
	s_delay_alu instid0(VALU_DEP_1) | instskip(NEXT) | instid1(VALU_DEP_1)
	v_lshrrev_b32_e32 v5, 5, v1
	v_bfrev_b32_e32 v3, v5
	s_delay_alu instid0(VALU_DEP_1) | instskip(NEXT) | instid1(VALU_DEP_1)
	v_lshrrev_b32_e32 v6, s3, v3
	v_cmpx_le_u32_e64 v5, v6
	s_cbranch_execz .LBB1_1
; %bb.3:                                ;   in Loop: Header=BB1_2 Depth=1
	v_and_or_b32 v1, 0xffffffe0, v1, v22
	v_lshl_or_b32 v79, v6, 5, v22
	s_delay_alu instid0(VALU_DEP_2) | instskip(NEXT) | instid1(VALU_DEP_1)
	v_lshlrev_b64_e32 v[23:24], 3, v[1:2]
	v_add_co_u32 v3, vcc_lo, s6, v23
	s_wait_alu 0xfffd
	s_delay_alu instid0(VALU_DEP_2)
	v_add_co_ci_u32_e64 v4, null, s7, v24, vcc_lo
	v_cmp_ne_u32_e32 vcc_lo, v5, v6
	global_load_b64 v[3:4], v[3:4], off
	s_wait_loadcnt 0x0
	scratch_store_b64 off, v[3:4], off      ; 8-byte Folded Spill
	ds_store_b64 v191, v[3:4]
	s_and_saveexec_b32 s44, vcc_lo
	s_cbranch_execz .LBB1_5
; %bb.4:                                ;   in Loop: Header=BB1_2 Depth=1
	v_mov_b32_e32 v80, v2
	s_delay_alu instid0(VALU_DEP_1) | instskip(NEXT) | instid1(VALU_DEP_1)
	v_lshlrev_b64_e32 v[3:4], 3, v[79:80]
	v_add_co_u32 v3, s0, s6, v3
	s_wait_alu 0xf1ff
	s_delay_alu instid0(VALU_DEP_2)
	v_add_co_ci_u32_e64 v4, null, s7, v4, s0
	global_load_b64 v[3:4], v[3:4], off
	s_wait_loadcnt 0x0
	scratch_store_b64 off, v[3:4], off      ; 8-byte Folded Spill
.LBB1_5:                                ;   in Loop: Header=BB1_2 Depth=1
	s_or_b32 exec_lo, exec_lo, s44
	v_dual_mov_b32 v4, v2 :: v_dual_add_nc_u32 v3, s10, v1
	v_add_nc_u32_e32 v83, s10, v79
	s_delay_alu instid0(VALU_DEP_2) | instskip(NEXT) | instid1(VALU_DEP_1)
	v_lshlrev_b64_e32 v[27:28], 3, v[3:4]
	v_add_co_u32 v3, s0, s6, v27
	s_wait_alu 0xf1ff
	s_delay_alu instid0(VALU_DEP_2)
	v_add_co_ci_u32_e64 v4, null, s7, v28, s0
	global_load_b64 v[3:4], v[3:4], off
	s_wait_loadcnt 0x0
	scratch_store_b64 off, v[3:4], off offset:8 ; 8-byte Folded Spill
	ds_store_b64 v191, v[3:4] offset:256
	s_and_saveexec_b32 s44, vcc_lo
	s_cbranch_execz .LBB1_7
; %bb.6:                                ;   in Loop: Header=BB1_2 Depth=1
	v_mov_b32_e32 v84, v2
	s_delay_alu instid0(VALU_DEP_1) | instskip(NEXT) | instid1(VALU_DEP_1)
	v_lshlrev_b64_e32 v[3:4], 3, v[83:84]
	v_add_co_u32 v3, s0, s6, v3
	s_wait_alu 0xf1ff
	s_delay_alu instid0(VALU_DEP_2)
	v_add_co_ci_u32_e64 v4, null, s7, v4, s0
	global_load_b64 v[3:4], v[3:4], off
	s_wait_loadcnt 0x0
	scratch_store_b64 off, v[3:4], off offset:8 ; 8-byte Folded Spill
.LBB1_7:                                ;   in Loop: Header=BB1_2 Depth=1
	s_or_b32 exec_lo, exec_lo, s44
	v_dual_mov_b32 v4, v2 :: v_dual_add_nc_u32 v3, s11, v1
	v_add_nc_u32_e32 v89, s11, v79
	s_delay_alu instid0(VALU_DEP_2) | instskip(NEXT) | instid1(VALU_DEP_1)
	v_lshlrev_b64_e32 v[7:8], 3, v[3:4]
	v_add_co_u32 v3, s0, s6, v7
	s_wait_alu 0xf1ff
	s_delay_alu instid0(VALU_DEP_2)
	v_add_co_ci_u32_e64 v4, null, s7, v8, s0
	global_load_b64 v[3:4], v[3:4], off
	s_wait_loadcnt 0x0
	scratch_store_b64 off, v[3:4], off offset:16 ; 8-byte Folded Spill
	ds_store_b64 v191, v[3:4] offset:512
	s_and_saveexec_b32 s44, vcc_lo
	s_cbranch_execz .LBB1_9
; %bb.8:                                ;   in Loop: Header=BB1_2 Depth=1
	v_mov_b32_e32 v90, v2
	s_delay_alu instid0(VALU_DEP_1) | instskip(NEXT) | instid1(VALU_DEP_1)
	v_lshlrev_b64_e32 v[3:4], 3, v[89:90]
	v_add_co_u32 v3, s0, s6, v3
	s_wait_alu 0xf1ff
	s_delay_alu instid0(VALU_DEP_2)
	v_add_co_ci_u32_e64 v4, null, s7, v4, s0
	global_load_b64 v[3:4], v[3:4], off
	s_wait_loadcnt 0x0
	scratch_store_b64 off, v[3:4], off offset:16 ; 8-byte Folded Spill
.LBB1_9:                                ;   in Loop: Header=BB1_2 Depth=1
	s_or_b32 exec_lo, exec_lo, s44
	v_dual_mov_b32 v4, v2 :: v_dual_add_nc_u32 v3, s12, v1
	v_add_nc_u32_e32 v95, s12, v79
	s_delay_alu instid0(VALU_DEP_2) | instskip(NEXT) | instid1(VALU_DEP_1)
	v_lshlrev_b64_e32 v[11:12], 3, v[3:4]
	v_add_co_u32 v3, s0, s6, v11
	s_wait_alu 0xf1ff
	s_delay_alu instid0(VALU_DEP_2)
	v_add_co_ci_u32_e64 v4, null, s7, v12, s0
	global_load_b64 v[3:4], v[3:4], off
	s_wait_loadcnt 0x0
	scratch_store_b64 off, v[3:4], off offset:24 ; 8-byte Folded Spill
	ds_store_b64 v191, v[3:4] offset:768
	s_and_saveexec_b32 s44, vcc_lo
	s_cbranch_execz .LBB1_11
; %bb.10:                               ;   in Loop: Header=BB1_2 Depth=1
	v_mov_b32_e32 v96, v2
	s_delay_alu instid0(VALU_DEP_1) | instskip(NEXT) | instid1(VALU_DEP_1)
	v_lshlrev_b64_e32 v[3:4], 3, v[95:96]
	v_add_co_u32 v3, s0, s6, v3
	s_wait_alu 0xf1ff
	s_delay_alu instid0(VALU_DEP_2)
	v_add_co_ci_u32_e64 v4, null, s7, v4, s0
	global_load_b64 v[3:4], v[3:4], off
	s_wait_loadcnt 0x0
	scratch_store_b64 off, v[3:4], off offset:24 ; 8-byte Folded Spill
.LBB1_11:                               ;   in Loop: Header=BB1_2 Depth=1
	s_or_b32 exec_lo, exec_lo, s44
	v_dual_mov_b32 v4, v2 :: v_dual_add_nc_u32 v3, s13, v1
	v_add_nc_u32_e32 v97, s13, v79
	s_delay_alu instid0(VALU_DEP_2) | instskip(NEXT) | instid1(VALU_DEP_1)
	v_lshlrev_b64_e32 v[15:16], 3, v[3:4]
	v_add_co_u32 v3, s0, s6, v15
	s_wait_alu 0xf1ff
	s_delay_alu instid0(VALU_DEP_2)
	v_add_co_ci_u32_e64 v4, null, s7, v16, s0
	global_load_b64 v[3:4], v[3:4], off
	s_wait_loadcnt 0x0
	scratch_store_b64 off, v[3:4], off offset:32 ; 8-byte Folded Spill
	ds_store_b64 v191, v[3:4] offset:1024
	s_and_saveexec_b32 s44, vcc_lo
	s_cbranch_execz .LBB1_13
; %bb.12:                               ;   in Loop: Header=BB1_2 Depth=1
	v_mov_b32_e32 v98, v2
	s_delay_alu instid0(VALU_DEP_1) | instskip(NEXT) | instid1(VALU_DEP_1)
	v_lshlrev_b64_e32 v[3:4], 3, v[97:98]
	v_add_co_u32 v3, s0, s6, v3
	s_wait_alu 0xf1ff
	s_delay_alu instid0(VALU_DEP_2)
	v_add_co_ci_u32_e64 v4, null, s7, v4, s0
	global_load_b64 v[3:4], v[3:4], off
	s_wait_loadcnt 0x0
	scratch_store_b64 off, v[3:4], off offset:32 ; 8-byte Folded Spill
.LBB1_13:                               ;   in Loop: Header=BB1_2 Depth=1
	;; [unrolled: 27-line block ×4, first 2 shown]
	s_or_b32 exec_lo, exec_lo, s44
	v_dual_mov_b32 v4, v2 :: v_dual_add_nc_u32 v3, s16, v1
	v_add_nc_u32_e32 v113, s16, v79
	s_delay_alu instid0(VALU_DEP_2) | instskip(NEXT) | instid1(VALU_DEP_1)
	v_lshlrev_b64_e32 v[25:26], 3, v[3:4]
	v_add_co_u32 v3, s0, s6, v25
	s_wait_alu 0xf1ff
	s_delay_alu instid0(VALU_DEP_2)
	v_add_co_ci_u32_e64 v4, null, s7, v26, s0
	global_load_b64 v[41:42], v[3:4], off
	s_wait_loadcnt 0x0
	ds_store_b64 v191, v[41:42] offset:1792
	s_and_saveexec_b32 s44, vcc_lo
	s_cbranch_execz .LBB1_19
; %bb.18:                               ;   in Loop: Header=BB1_2 Depth=1
	v_mov_b32_e32 v114, v2
	s_delay_alu instid0(VALU_DEP_1) | instskip(NEXT) | instid1(VALU_DEP_1)
	v_lshlrev_b64_e32 v[3:4], 3, v[113:114]
	v_add_co_u32 v3, s0, s6, v3
	s_wait_alu 0xf1ff
	s_delay_alu instid0(VALU_DEP_2)
	v_add_co_ci_u32_e64 v4, null, s7, v4, s0
	global_load_b64 v[41:42], v[3:4], off
.LBB1_19:                               ;   in Loop: Header=BB1_2 Depth=1
	s_or_b32 exec_lo, exec_lo, s44
	v_dual_mov_b32 v4, v2 :: v_dual_add_nc_u32 v3, s17, v1
	v_add_nc_u32_e32 v117, s17, v79
	s_delay_alu instid0(VALU_DEP_2) | instskip(NEXT) | instid1(VALU_DEP_1)
	v_lshlrev_b64_e32 v[29:30], 3, v[3:4]
	v_add_co_u32 v3, s0, s6, v29
	s_wait_alu 0xf1ff
	s_delay_alu instid0(VALU_DEP_2)
	v_add_co_ci_u32_e64 v4, null, s7, v30, s0
	global_load_b64 v[47:48], v[3:4], off
	s_wait_loadcnt 0x0
	ds_store_b64 v191, v[47:48] offset:2048
	s_and_saveexec_b32 s44, vcc_lo
	s_cbranch_execz .LBB1_21
; %bb.20:                               ;   in Loop: Header=BB1_2 Depth=1
	v_mov_b32_e32 v118, v2
	s_delay_alu instid0(VALU_DEP_1) | instskip(NEXT) | instid1(VALU_DEP_1)
	v_lshlrev_b64_e32 v[3:4], 3, v[117:118]
	v_add_co_u32 v3, s0, s6, v3
	s_wait_alu 0xf1ff
	s_delay_alu instid0(VALU_DEP_2)
	v_add_co_ci_u32_e64 v4, null, s7, v4, s0
	global_load_b64 v[47:48], v[3:4], off
.LBB1_21:                               ;   in Loop: Header=BB1_2 Depth=1
	;; [unrolled: 24-line block ×24, first 2 shown]
	s_or_b32 exec_lo, exec_lo, s44
	v_add_nc_u32_e32 v1, s41, v1
	s_delay_alu instid0(VALU_DEP_1) | instskip(SKIP_1) | instid1(VALU_DEP_1)
	v_lshlrev_b64_e32 v[129:130], 3, v[1:2]
	v_add_nc_u32_e32 v1, s41, v79
	v_lshlrev_b64_e32 v[13:14], 3, v[1:2]
	s_delay_alu instid0(VALU_DEP_3) | instskip(SKIP_1) | instid1(VALU_DEP_4)
	v_add_co_u32 v3, s0, s6, v129
	s_wait_alu 0xf1ff
	v_add_co_ci_u32_e64 v4, null, s7, v130, s0
	global_load_b64 v[187:188], v[3:4], off
	s_wait_loadcnt 0x0
	ds_store_b64 v191, v[187:188] offset:7936
	s_and_saveexec_b32 s44, vcc_lo
	s_cbranch_execz .LBB1_67
; %bb.66:                               ;   in Loop: Header=BB1_2 Depth=1
	v_add_co_u32 v3, s0, s6, v13
	s_wait_alu 0xf1ff
	v_add_co_ci_u32_e64 v4, null, s7, v14, s0
	global_load_b64 v[187:188], v[3:4], off
.LBB1_67:                               ;   in Loop: Header=BB1_2 Depth=1
	s_or_b32 exec_lo, exec_lo, s44
	ds_load_2addr_b64 v[3:6], v17 offset1:1
	ds_load_2addr_b64 v[18:21], v17 offset0:2 offset1:3
	v_mov_b32_e32 v80, v2
	v_mov_b32_e32 v84, v2
	;; [unrolled: 1-line block ×5, first 2 shown]
	v_lshlrev_b64_e32 v[79:80], 3, v[79:80]
	v_lshlrev_b64_e32 v[83:84], 3, v[83:84]
	;; [unrolled: 1-line block ×4, first 2 shown]
	v_mov_b32_e32 v104, v2
	v_mov_b32_e32 v110, v2
	v_add_co_u32 v79, s0, s4, v79
	s_wait_alu 0xf1ff
	v_add_co_ci_u32_e64 v80, null, s5, v80, s0
	v_add_co_u32 v83, s0, s4, v83
	s_wait_alu 0xf1ff
	v_add_co_ci_u32_e64 v84, null, s5, v84, s0
	s_wait_dscnt 0x1
	s_clause 0x1
	global_store_b64 v[79:80], v[3:4], off
	global_store_b64 v[83:84], v[5:6], off
	v_add_co_u32 v3, s0, s4, v89
	s_wait_alu 0xf1ff
	v_add_co_ci_u32_e64 v4, null, s5, v90, s0
	v_add_co_u32 v79, s0, s4, v95
	s_wait_alu 0xf1ff
	v_add_co_ci_u32_e64 v80, null, s5, v96, s0
	s_wait_dscnt 0x0
	global_store_b64 v[3:4], v[18:19], off
	ds_load_2addr_b64 v[3:6], v17 offset0:4 offset1:5
	v_lshlrev_b64_e32 v[83:84], 3, v[97:98]
	global_store_b64 v[79:80], v[20:21], off
	ds_load_2addr_b64 v[18:21], v17 offset0:6 offset1:7
	v_lshlrev_b64_e32 v[79:80], 3, v[103:104]
	v_lshlrev_b64_e32 v[89:90], 3, v[109:110]
	v_mov_b32_e32 v114, v2
	v_add_co_u32 v83, s0, s4, v83
	s_wait_alu 0xf1ff
	v_add_co_ci_u32_e64 v84, null, s5, v84, s0
	v_add_co_u32 v79, s0, s4, v79
	s_wait_alu 0xf1ff
	v_add_co_ci_u32_e64 v80, null, s5, v80, s0
	;; [unrolled: 3-line block ×3, first 2 shown]
	v_mov_b32_e32 v118, v2
	s_wait_dscnt 0x1
	s_clause 0x1
	global_store_b64 v[83:84], v[3:4], off
	global_store_b64 v[79:80], v[5:6], off
	ds_load_2addr_b64 v[3:6], v17 offset0:8 offset1:9
	ds_load_2addr_b64 v[95:98], v17 offset0:10 offset1:11
	v_mov_b32_e32 v122, v2
	v_lshlrev_b64_e32 v[79:80], 3, v[113:114]
	s_wait_dscnt 0x2
	global_store_b64 v[89:90], v[18:19], off
	v_lshlrev_b64_e32 v[18:19], 3, v[117:118]
	v_mov_b32_e32 v128, v2
	v_lshlrev_b64_e32 v[83:84], 3, v[121:122]
	v_mov_b32_e32 v132, v2
	v_add_co_u32 v79, s0, s4, v79
	s_wait_alu 0xf1ff
	v_add_co_ci_u32_e64 v80, null, s5, v80, s0
	v_add_co_u32 v18, s0, s4, v18
	s_wait_alu 0xf1ff
	v_add_co_ci_u32_e64 v19, null, s5, v19, s0
	v_add_co_u32 v83, s0, s4, v83
	v_lshlrev_b64_e32 v[89:90], 3, v[127:128]
	s_wait_alu 0xf1ff
	v_add_co_ci_u32_e64 v84, null, s5, v84, s0
	global_store_b64 v[79:80], v[20:21], off
	s_wait_dscnt 0x1
	s_clause 0x1
	global_store_b64 v[18:19], v[3:4], off
	global_store_b64 v[83:84], v[5:6], off
	v_lshlrev_b64_e32 v[3:4], 3, v[131:132]
	v_add_co_u32 v5, s0, s4, v89
	s_wait_alu 0xf1ff
	v_add_co_ci_u32_e64 v6, null, s5, v90, s0
	v_mov_b32_e32 v136, v2
	s_delay_alu instid0(VALU_DEP_4)
	v_add_co_u32 v18, s0, s4, v3
	s_wait_alu 0xf1ff
	v_add_co_ci_u32_e64 v19, null, s5, v4, s0
	s_wait_dscnt 0x0
	global_store_b64 v[5:6], v[95:96], off
	ds_load_2addr_b64 v[3:6], v17 offset0:12 offset1:13
	v_mov_b32_e32 v140, v2
	v_lshlrev_b64_e32 v[79:80], 3, v[135:136]
	global_store_b64 v[18:19], v[97:98], off
	ds_load_2addr_b64 v[18:21], v17 offset0:14 offset1:15
	v_mov_b32_e32 v142, v2
	v_lshlrev_b64_e32 v[83:84], 3, v[139:140]
	v_mov_b32_e32 v144, v2
	v_add_co_u32 v79, s0, s4, v79
	s_wait_alu 0xf1ff
	v_add_co_ci_u32_e64 v80, null, s5, v80, s0
	v_lshlrev_b64_e32 v[89:90], 3, v[141:142]
	v_add_co_u32 v83, s0, s4, v83
	s_wait_alu 0xf1ff
	v_add_co_ci_u32_e64 v84, null, s5, v84, s0
	v_mov_b32_e32 v148, v2
	s_delay_alu instid0(VALU_DEP_4)
	v_add_co_u32 v89, s0, s4, v89
	s_wait_dscnt 0x1
	s_clause 0x1
	global_store_b64 v[79:80], v[3:4], off
	global_store_b64 v[83:84], v[5:6], off
	ds_load_2addr_b64 v[3:6], v17 offset0:16 offset1:17
	ds_load_2addr_b64 v[95:98], v17 offset0:18 offset1:19
	s_wait_alu 0xf1ff
	v_add_co_ci_u32_e64 v90, null, s5, v90, s0
	v_mov_b32_e32 v152, v2
	v_lshlrev_b64_e32 v[79:80], 3, v[143:144]
	v_mov_b32_e32 v154, v2
	s_wait_dscnt 0x2
	global_store_b64 v[89:90], v[18:19], off
	v_lshlrev_b64_e32 v[18:19], 3, v[147:148]
	v_lshlrev_b64_e32 v[83:84], 3, v[151:152]
	v_mov_b32_e32 v158, v2
	v_add_co_u32 v79, s0, s4, v79
	s_wait_alu 0xf1ff
	v_add_co_ci_u32_e64 v80, null, s5, v80, s0
	v_add_co_u32 v18, s0, s4, v18
	s_wait_alu 0xf1ff
	v_add_co_ci_u32_e64 v19, null, s5, v19, s0
	v_add_co_u32 v83, s0, s4, v83
	v_lshlrev_b64_e32 v[89:90], 3, v[153:154]
	s_wait_alu 0xf1ff
	v_add_co_ci_u32_e64 v84, null, s5, v84, s0
	global_store_b64 v[79:80], v[20:21], off
	s_wait_dscnt 0x1
	s_clause 0x1
	global_store_b64 v[18:19], v[3:4], off
	global_store_b64 v[83:84], v[5:6], off
	v_lshlrev_b64_e32 v[3:4], 3, v[157:158]
	v_add_co_u32 v5, s0, s4, v89
	s_wait_alu 0xf1ff
	v_add_co_ci_u32_e64 v6, null, s5, v90, s0
	v_mov_b32_e32 v160, v2
	s_delay_alu instid0(VALU_DEP_4)
	v_add_co_u32 v18, s0, s4, v3
	s_wait_alu 0xf1ff
	v_add_co_ci_u32_e64 v19, null, s5, v4, s0
	s_wait_dscnt 0x0
	global_store_b64 v[5:6], v[95:96], off
	ds_load_2addr_b64 v[3:6], v17 offset0:20 offset1:21
	v_mov_b32_e32 v164, v2
	v_lshlrev_b64_e32 v[79:80], 3, v[159:160]
	global_store_b64 v[18:19], v[97:98], off
	ds_load_2addr_b64 v[18:21], v17 offset0:22 offset1:23
	v_mov_b32_e32 v166, v2
	v_lshlrev_b64_e32 v[83:84], 3, v[163:164]
	v_mov_b32_e32 v170, v2
	v_add_co_u32 v79, s0, s4, v79
	s_wait_alu 0xf1ff
	v_add_co_ci_u32_e64 v80, null, s5, v80, s0
	s_delay_alu instid0(VALU_DEP_4)
	v_add_co_u32 v83, s0, s4, v83
	v_lshlrev_b64_e32 v[89:90], 3, v[165:166]
	s_wait_alu 0xf1ff
	v_add_co_ci_u32_e64 v84, null, s5, v84, s0
	v_mov_b32_e32 v174, v2
	v_mov_b32_e32 v176, v2
	ds_load_2addr_b64 v[95:98], v17 offset0:26 offset1:27
	v_add_co_u32 v89, s0, s4, v89
	s_wait_dscnt 0x2
	s_clause 0x1
	global_store_b64 v[79:80], v[3:4], off
	global_store_b64 v[83:84], v[5:6], off
	ds_load_2addr_b64 v[3:6], v17 offset0:24 offset1:25
	s_wait_alu 0xf1ff
	v_add_co_ci_u32_e64 v90, null, s5, v90, s0
	v_lshlrev_b64_e32 v[79:80], 3, v[169:170]
	v_mov_b32_e32 v180, v2
	v_lshlrev_b64_e32 v[83:84], 3, v[175:176]
	s_wait_dscnt 0x2
	global_store_b64 v[89:90], v[18:19], off
	v_lshlrev_b64_e32 v[18:19], 3, v[173:174]
	v_mov_b32_e32 v182, v2
	v_add_co_u32 v79, s0, s4, v79
	s_wait_alu 0xf1ff
	v_add_co_ci_u32_e64 v80, null, s5, v80, s0
	s_delay_alu instid0(VALU_DEP_4)
	v_add_co_u32 v18, s0, s4, v18
	v_lshlrev_b64_e32 v[89:90], 3, v[179:180]
	s_wait_alu 0xf1ff
	v_add_co_ci_u32_e64 v19, null, s5, v19, s0
	v_add_co_u32 v83, s0, s4, v83
	global_store_b64 v[79:80], v[20:21], off
	s_wait_dscnt 0x0
	global_store_b64 v[18:19], v[3:4], off
	v_lshlrev_b64_e32 v[3:4], 3, v[181:182]
	s_wait_alu 0xf1ff
	v_add_co_ci_u32_e64 v84, null, s5, v84, s0
	v_add_co_u32 v89, s0, s4, v89
	s_wait_alu 0xf1ff
	v_add_co_ci_u32_e64 v90, null, s5, v90, s0
	v_add_co_u32 v79, s0, s4, v3
	s_clause 0x1
	global_store_b64 v[83:84], v[5:6], off
	global_store_b64 v[89:90], v[95:96], off
	v_mov_b32_e32 v186, v2
	s_wait_alu 0xf1ff
	v_add_co_ci_u32_e64 v80, null, s5, v4, s0
	ds_load_2addr_b64 v[3:6], v17 offset0:28 offset1:29
	ds_load_2addr_b64 v[18:21], v17 offset0:30 offset1:31
	v_mov_b32_e32 v190, v2
	v_mov_b32_e32 v10, v2
	v_lshlrev_b64_e32 v[83:84], 3, v[185:186]
	s_delay_alu instid0(VALU_DEP_3) | instskip(NEXT) | instid1(VALU_DEP_3)
	v_lshlrev_b64_e32 v[89:90], 3, v[189:190]
	v_lshlrev_b64_e32 v[9:10], 3, v[9:10]
	s_delay_alu instid0(VALU_DEP_3) | instskip(SKIP_1) | instid1(VALU_DEP_4)
	v_add_co_u32 v83, s0, s4, v83
	s_wait_alu 0xf1ff
	v_add_co_ci_u32_e64 v84, null, s5, v84, s0
	s_delay_alu instid0(VALU_DEP_4)
	v_add_co_u32 v89, s0, s4, v89
	s_wait_alu 0xf1ff
	v_add_co_ci_u32_e64 v90, null, s5, v90, s0
	v_add_co_u32 v9, s0, s4, v9
	s_wait_alu 0xf1ff
	v_add_co_ci_u32_e64 v10, null, s5, v10, s0
	;; [unrolled: 3-line block ×3, first 2 shown]
	global_store_b64 v[79:80], v[97:98], off
	s_wait_dscnt 0x1
	s_clause 0x1
	global_store_b64 v[83:84], v[3:4], off
	global_store_b64 v[89:90], v[5:6], off
	s_wait_dscnt 0x0
	s_clause 0x1
	global_store_b64 v[9:10], v[18:19], off
	global_store_b64 v[13:14], v[20:21], off
	s_and_b32 exec_lo, exec_lo, vcc_lo
	s_cbranch_execz .LBB1_1
; %bb.68:                               ;   in Loop: Header=BB1_2 Depth=1
	s_clause 0x1
	scratch_load_b64 v[3:4], off, off th:TH_LOAD_LU
	scratch_load_b64 v[5:6], off, off offset:8 th:TH_LOAD_LU
	v_add_nc_u32_e32 v1, 0x800, v191
	v_add_co_u32 v9, vcc_lo, s4, v23
	s_wait_alu 0xfffd
	v_add_co_ci_u32_e64 v10, null, s5, v24, vcc_lo
	v_add_co_u32 v13, vcc_lo, s4, v27
	s_wait_alu 0xfffd
	v_add_co_ci_u32_e64 v14, null, s5, v28, vcc_lo
	;; [unrolled: 3-line block ×3, first 2 shown]
	s_wait_loadcnt 0x0
	ds_store_2addr_b64 v191, v[3:4], v[5:6] offset1:32
	s_clause 0x1
	scratch_load_b64 v[3:4], off, off offset:16 th:TH_LOAD_LU
	scratch_load_b64 v[5:6], off, off offset:24 th:TH_LOAD_LU
	s_wait_loadcnt 0x0
	ds_store_2addr_b64 v191, v[3:4], v[5:6] offset0:64 offset1:96
	s_clause 0x1
	scratch_load_b64 v[3:4], off, off offset:32 th:TH_LOAD_LU
	scratch_load_b64 v[5:6], off, off offset:40 th:TH_LOAD_LU
	s_wait_loadcnt 0x0
	ds_store_2addr_b64 v191, v[3:4], v[5:6] offset0:128 offset1:160
	scratch_load_b64 v[3:4], off, off offset:48 th:TH_LOAD_LU ; 8-byte Folded Reload
	s_wait_loadcnt 0x0
	ds_store_2addr_b64 v191, v[3:4], v[41:42] offset0:192 offset1:224
	ds_store_2addr_b64 v1, v[47:48], v[51:52] offset1:32
	v_add_nc_u32_e32 v3, 0x1000, v191
	ds_store_2addr_b64 v1, v[55:56], v[61:62] offset0:64 offset1:96
	ds_store_2addr_b64 v1, v[65:66], v[71:72] offset0:128 offset1:160
	;; [unrolled: 1-line block ×3, first 2 shown]
	v_add_nc_u32_e32 v1, 0x1800, v191
	ds_store_2addr_b64 v3, v[91:92], v[99:100] offset1:32
	ds_store_2addr_b64 v3, v[107:108], v[115:116] offset0:64 offset1:96
	ds_store_2addr_b64 v3, v[123:124], v[133:134] offset0:128 offset1:160
	;; [unrolled: 1-line block ×3, first 2 shown]
	ds_store_2addr_b64 v1, v[149:150], v[155:156] offset1:32
	ds_store_2addr_b64 v1, v[161:162], v[167:168] offset0:64 offset1:96
	ds_store_2addr_b64 v1, v[171:172], v[177:178] offset0:128 offset1:160
	;; [unrolled: 1-line block ×3, first 2 shown]
	ds_load_2addr_b64 v[3:6], v17 offset1:1
	ds_load_2addr_b64 v[18:21], v17 offset0:2 offset1:3
	v_mov_b32_e32 v1, v22
	s_wait_dscnt 0x1
	s_clause 0x1
	global_store_b64 v[9:10], v[3:4], off
	global_store_b64 v[13:14], v[5:6], off
	ds_load_2addr_b64 v[3:6], v17 offset0:4 offset1:5
	v_add_co_u32 v9, vcc_lo, s4, v11
	s_wait_alu 0xfffd
	v_add_co_ci_u32_e64 v10, null, s5, v12, vcc_lo
	v_add_co_u32 v11, vcc_lo, s4, v15
	s_wait_alu 0xfffd
	v_add_co_ci_u32_e64 v12, null, s5, v16, vcc_lo
	v_add_co_u32 v13, vcc_lo, s4, v31
	s_wait_alu 0xfffd
	v_add_co_ci_u32_e64 v14, null, s5, v32, vcc_lo
	s_wait_dscnt 0x1
	s_clause 0x1
	global_store_b64 v[7:8], v[18:19], off
	global_store_b64 v[9:10], v[20:21], off
	ds_load_2addr_b64 v[7:10], v17 offset0:6 offset1:7
	s_wait_dscnt 0x1
	s_clause 0x1
	global_store_b64 v[11:12], v[3:4], off
	global_store_b64 v[13:14], v[5:6], off
	ds_load_2addr_b64 v[3:6], v17 offset0:8 offset1:9
	v_add_co_u32 v11, vcc_lo, s4, v37
	s_wait_alu 0xfffd
	v_add_co_ci_u32_e64 v12, null, s5, v38, vcc_lo
	v_add_co_u32 v13, vcc_lo, s4, v25
	s_wait_alu 0xfffd
	v_add_co_ci_u32_e64 v14, null, s5, v26, vcc_lo
	v_add_co_u32 v15, vcc_lo, s4, v29
	s_wait_alu 0xfffd
	v_add_co_ci_u32_e64 v16, null, s5, v30, vcc_lo
	v_add_co_u32 v18, vcc_lo, s4, v33
	s_wait_alu 0xfffd
	v_add_co_ci_u32_e64 v19, null, s5, v34, vcc_lo
	s_wait_dscnt 0x1
	s_clause 0x1
	global_store_b64 v[11:12], v[7:8], off
	global_store_b64 v[13:14], v[9:10], off
	ds_load_2addr_b64 v[7:10], v17 offset0:10 offset1:11
	s_wait_dscnt 0x1
	s_clause 0x1
	global_store_b64 v[15:16], v[3:4], off
	global_store_b64 v[18:19], v[5:6], off
	ds_load_2addr_b64 v[3:6], v17 offset0:12 offset1:13
	v_add_co_u32 v11, vcc_lo, s4, v35
	s_wait_alu 0xfffd
	v_add_co_ci_u32_e64 v12, null, s5, v36, vcc_lo
	v_add_co_u32 v13, vcc_lo, s4, v39
	s_wait_alu 0xfffd
	v_add_co_ci_u32_e64 v14, null, s5, v40, vcc_lo
	v_add_co_u32 v15, vcc_lo, s4, v43
	s_wait_alu 0xfffd
	v_add_co_ci_u32_e64 v16, null, s5, v44, vcc_lo
	v_add_co_u32 v18, vcc_lo, s4, v45
	s_wait_alu 0xfffd
	v_add_co_ci_u32_e64 v19, null, s5, v46, vcc_lo
	s_wait_dscnt 0x1
	s_clause 0x1
	global_store_b64 v[11:12], v[7:8], off
	global_store_b64 v[13:14], v[9:10], off
	ds_load_2addr_b64 v[7:10], v17 offset0:14 offset1:15
	s_wait_dscnt 0x1
	s_clause 0x1
	global_store_b64 v[15:16], v[3:4], off
	global_store_b64 v[18:19], v[5:6], off
	ds_load_2addr_b64 v[3:6], v17 offset0:16 offset1:17
	v_add_co_u32 v11, vcc_lo, s4, v49
	s_wait_alu 0xfffd
	v_add_co_ci_u32_e64 v12, null, s5, v50, vcc_lo
	v_add_co_u32 v13, vcc_lo, s4, v53
	s_wait_alu 0xfffd
	v_add_co_ci_u32_e64 v14, null, s5, v54, vcc_lo
	v_add_co_u32 v15, vcc_lo, s4, v57
	s_wait_alu 0xfffd
	v_add_co_ci_u32_e64 v16, null, s5, v58, vcc_lo
	v_add_co_u32 v18, vcc_lo, s4, v59
	s_wait_alu 0xfffd
	v_add_co_ci_u32_e64 v19, null, s5, v60, vcc_lo
	s_wait_dscnt 0x1
	s_clause 0x1
	global_store_b64 v[11:12], v[7:8], off
	global_store_b64 v[13:14], v[9:10], off
	ds_load_2addr_b64 v[7:10], v17 offset0:18 offset1:19
	s_wait_dscnt 0x1
	s_clause 0x1
	global_store_b64 v[15:16], v[3:4], off
	global_store_b64 v[18:19], v[5:6], off
	ds_load_2addr_b64 v[3:6], v17 offset0:20 offset1:21
	v_add_co_u32 v11, vcc_lo, s4, v63
	s_wait_alu 0xfffd
	v_add_co_ci_u32_e64 v12, null, s5, v64, vcc_lo
	v_add_co_u32 v13, vcc_lo, s4, v67
	s_wait_alu 0xfffd
	v_add_co_ci_u32_e64 v14, null, s5, v68, vcc_lo
	v_add_co_u32 v15, vcc_lo, s4, v69
	s_wait_alu 0xfffd
	v_add_co_ci_u32_e64 v16, null, s5, v70, vcc_lo
	;; [unrolled: 3-line block ×3, first 2 shown]
	s_wait_dscnt 0x1
	s_clause 0x1
	global_store_b64 v[11:12], v[7:8], off
	global_store_b64 v[13:14], v[9:10], off
	ds_load_2addr_b64 v[7:10], v17 offset0:22 offset1:23
	s_wait_dscnt 0x1
	s_clause 0x1
	global_store_b64 v[15:16], v[3:4], off
	global_store_b64 v[18:19], v[5:6], off
	ds_load_2addr_b64 v[3:6], v17 offset0:24 offset1:25
	ds_load_2addr_b64 v[11:14], v17 offset0:26 offset1:27
	v_add_co_u32 v15, vcc_lo, s4, v77
	s_wait_alu 0xfffd
	v_add_co_ci_u32_e64 v16, null, s5, v78, vcc_lo
	v_add_co_u32 v18, vcc_lo, s4, v81
	s_wait_alu 0xfffd
	v_add_co_ci_u32_e64 v19, null, s5, v82, vcc_lo
	v_add_co_u32 v20, vcc_lo, s4, v87
	s_wait_alu 0xfffd
	v_add_co_ci_u32_e64 v21, null, s5, v88, vcc_lo
	v_add_co_u32 v22, vcc_lo, s4, v93
	s_wait_alu 0xfffd
	v_add_co_ci_u32_e64 v23, null, s5, v94, vcc_lo
	v_add_co_u32 v24, vcc_lo, s4, v101
	s_wait_alu 0xfffd
	v_add_co_ci_u32_e64 v25, null, s5, v102, vcc_lo
	s_wait_dscnt 0x2
	s_clause 0x1
	global_store_b64 v[15:16], v[7:8], off
	global_store_b64 v[18:19], v[9:10], off
	s_wait_dscnt 0x1
	s_clause 0x1
	global_store_b64 v[20:21], v[3:4], off
	global_store_b64 v[22:23], v[5:6], off
	s_wait_dscnt 0x0
	global_store_b64 v[24:25], v[11:12], off
	ds_load_2addr_b64 v[3:6], v17 offset0:28 offset1:29
	ds_load_2addr_b64 v[7:10], v17 offset0:30 offset1:31
	v_add_co_u32 v11, vcc_lo, s4, v105
	s_wait_alu 0xfffd
	v_add_co_ci_u32_e64 v12, null, s5, v106, vcc_lo
	v_add_co_u32 v15, vcc_lo, s4, v111
	s_wait_alu 0xfffd
	v_add_co_ci_u32_e64 v16, null, s5, v112, vcc_lo
	;; [unrolled: 3-line block ×5, first 2 shown]
	global_store_b64 v[11:12], v[13:14], off
	s_wait_dscnt 0x1
	s_clause 0x1
	global_store_b64 v[15:16], v[3:4], off
	global_store_b64 v[18:19], v[5:6], off
	s_wait_dscnt 0x0
	s_clause 0x1
	global_store_b64 v[20:21], v[7:8], off
	global_store_b64 v[22:23], v[9:10], off
	v_mov_b32_e32 v22, v1
	s_branch .LBB1_1
.LBB1_69:
	s_nop 0
	s_sendmsg sendmsg(MSG_DEALLOC_VGPRS)
	s_endpgm
	.section	.rodata,"a",@progbits
	.p2align	6, 0x0
	.amdhsa_kernel _Z21bit_rev_permutation_zPlPKlj
		.amdhsa_group_segment_fixed_size 0
		.amdhsa_private_segment_fixed_size 60
		.amdhsa_kernarg_size 280
		.amdhsa_user_sgpr_count 2
		.amdhsa_user_sgpr_dispatch_ptr 0
		.amdhsa_user_sgpr_queue_ptr 0
		.amdhsa_user_sgpr_kernarg_segment_ptr 1
		.amdhsa_user_sgpr_dispatch_id 0
		.amdhsa_user_sgpr_private_segment_size 0
		.amdhsa_wavefront_size32 1
		.amdhsa_uses_dynamic_stack 0
		.amdhsa_enable_private_segment 1
		.amdhsa_system_sgpr_workgroup_id_x 1
		.amdhsa_system_sgpr_workgroup_id_y 0
		.amdhsa_system_sgpr_workgroup_id_z 0
		.amdhsa_system_sgpr_workgroup_info 0
		.amdhsa_system_vgpr_workitem_id 0
		.amdhsa_next_free_vgpr 192
		.amdhsa_next_free_sgpr 45
		.amdhsa_reserve_vcc 1
		.amdhsa_float_round_mode_32 0
		.amdhsa_float_round_mode_16_64 0
		.amdhsa_float_denorm_mode_32 3
		.amdhsa_float_denorm_mode_16_64 3
		.amdhsa_fp16_overflow 0
		.amdhsa_workgroup_processor_mode 1
		.amdhsa_memory_ordered 1
		.amdhsa_forward_progress 1
		.amdhsa_inst_pref_size 61
		.amdhsa_round_robin_scheduling 0
		.amdhsa_exception_fp_ieee_invalid_op 0
		.amdhsa_exception_fp_denorm_src 0
		.amdhsa_exception_fp_ieee_div_zero 0
		.amdhsa_exception_fp_ieee_overflow 0
		.amdhsa_exception_fp_ieee_underflow 0
		.amdhsa_exception_fp_ieee_inexact 0
		.amdhsa_exception_int_div_zero 0
	.end_amdhsa_kernel
	.text
.Lfunc_end1:
	.size	_Z21bit_rev_permutation_zPlPKlj, .Lfunc_end1-_Z21bit_rev_permutation_zPlPKlj
                                        ; -- End function
	.set _Z21bit_rev_permutation_zPlPKlj.num_vgpr, 192
	.set _Z21bit_rev_permutation_zPlPKlj.num_agpr, 0
	.set _Z21bit_rev_permutation_zPlPKlj.numbered_sgpr, 45
	.set _Z21bit_rev_permutation_zPlPKlj.num_named_barrier, 0
	.set _Z21bit_rev_permutation_zPlPKlj.private_seg_size, 60
	.set _Z21bit_rev_permutation_zPlPKlj.uses_vcc, 1
	.set _Z21bit_rev_permutation_zPlPKlj.uses_flat_scratch, 1
	.set _Z21bit_rev_permutation_zPlPKlj.has_dyn_sized_stack, 0
	.set _Z21bit_rev_permutation_zPlPKlj.has_recursion, 0
	.set _Z21bit_rev_permutation_zPlPKlj.has_indirect_call, 0
	.section	.AMDGPU.csdata,"",@progbits
; Kernel info:
; codeLenInByte = 7740
; TotalNumSgprs: 47
; NumVgprs: 192
; ScratchSize: 60
; MemoryBound: 0
; FloatMode: 240
; IeeeMode: 1
; LDSByteSize: 0 bytes/workgroup (compile time only)
; SGPRBlocks: 0
; VGPRBlocks: 23
; NumSGPRsForWavesPerEU: 47
; NumVGPRsForWavesPerEU: 192
; Occupancy: 8
; WaveLimiterHint : 0
; COMPUTE_PGM_RSRC2:SCRATCH_EN: 1
; COMPUTE_PGM_RSRC2:USER_SGPR: 2
; COMPUTE_PGM_RSRC2:TRAP_HANDLER: 0
; COMPUTE_PGM_RSRC2:TGID_X_EN: 1
; COMPUTE_PGM_RSRC2:TGID_Y_EN: 0
; COMPUTE_PGM_RSRC2:TGID_Z_EN: 0
; COMPUTE_PGM_RSRC2:TIDIG_COMP_CNT: 0
	.text
	.p2alignl 7, 3214868480
	.fill 96, 4, 3214868480
	.section	.AMDGPU.gpr_maximums,"",@progbits
	.set amdgpu.max_num_vgpr, 0
	.set amdgpu.max_num_agpr, 0
	.set amdgpu.max_num_sgpr, 0
	.text
	.type	__hip_cuid_6ab12a5f4b5e187a,@object ; @__hip_cuid_6ab12a5f4b5e187a
	.section	.bss,"aw",@nobits
	.globl	__hip_cuid_6ab12a5f4b5e187a
__hip_cuid_6ab12a5f4b5e187a:
	.byte	0                               ; 0x0
	.size	__hip_cuid_6ab12a5f4b5e187a, 1

	.ident	"AMD clang version 22.0.0git (https://github.com/RadeonOpenCompute/llvm-project roc-7.2.4 26084 f58b06dce1f9c15707c5f808fd002e18c2accf7e)"
	.section	".note.GNU-stack","",@progbits
	.addrsig
	.addrsig_sym __hip_cuid_6ab12a5f4b5e187a
	.amdgpu_metadata
---
amdhsa.kernels:
  - .args:
      - .address_space:  global
        .offset:         0
        .size:           8
        .value_kind:     global_buffer
      - .address_space:  global
        .offset:         8
        .size:           8
        .value_kind:     global_buffer
      - .offset:         16
        .size:           4
        .value_kind:     by_value
      - .offset:         24
        .size:           4
        .value_kind:     hidden_block_count_x
      - .offset:         28
        .size:           4
        .value_kind:     hidden_block_count_y
      - .offset:         32
        .size:           4
        .value_kind:     hidden_block_count_z
      - .offset:         36
        .size:           2
        .value_kind:     hidden_group_size_x
      - .offset:         38
        .size:           2
        .value_kind:     hidden_group_size_y
      - .offset:         40
        .size:           2
        .value_kind:     hidden_group_size_z
      - .offset:         42
        .size:           2
        .value_kind:     hidden_remainder_x
      - .offset:         44
        .size:           2
        .value_kind:     hidden_remainder_y
      - .offset:         46
        .size:           2
        .value_kind:     hidden_remainder_z
      - .offset:         64
        .size:           8
        .value_kind:     hidden_global_offset_x
      - .offset:         72
        .size:           8
        .value_kind:     hidden_global_offset_y
      - .offset:         80
        .size:           8
        .value_kind:     hidden_global_offset_z
      - .offset:         88
        .size:           2
        .value_kind:     hidden_grid_dims
    .group_segment_fixed_size: 0
    .kernarg_segment_align: 8
    .kernarg_segment_size: 280
    .language:       OpenCL C
    .language_version:
      - 2
      - 0
    .max_flat_workgroup_size: 1024
    .name:           _Z19bit_rev_permutationPlPKlj
    .private_segment_fixed_size: 0
    .sgpr_count:     12
    .sgpr_spill_count: 0
    .symbol:         _Z19bit_rev_permutationPlPKlj.kd
    .uniform_work_group_size: 1
    .uses_dynamic_stack: false
    .vgpr_count:     11
    .vgpr_spill_count: 0
    .wavefront_size: 32
    .workgroup_processor_mode: 1
  - .args:
      - .address_space:  global
        .offset:         0
        .size:           8
        .value_kind:     global_buffer
      - .address_space:  global
        .offset:         8
        .size:           8
        .value_kind:     global_buffer
      - .offset:         16
        .size:           4
        .value_kind:     by_value
      - .offset:         24
        .size:           4
        .value_kind:     hidden_block_count_x
      - .offset:         28
        .size:           4
        .value_kind:     hidden_block_count_y
      - .offset:         32
        .size:           4
        .value_kind:     hidden_block_count_z
      - .offset:         36
        .size:           2
        .value_kind:     hidden_group_size_x
      - .offset:         38
        .size:           2
        .value_kind:     hidden_group_size_y
      - .offset:         40
        .size:           2
        .value_kind:     hidden_group_size_z
      - .offset:         42
        .size:           2
        .value_kind:     hidden_remainder_x
      - .offset:         44
        .size:           2
        .value_kind:     hidden_remainder_y
      - .offset:         46
        .size:           2
        .value_kind:     hidden_remainder_z
      - .offset:         64
        .size:           8
        .value_kind:     hidden_global_offset_x
      - .offset:         72
        .size:           8
        .value_kind:     hidden_global_offset_y
      - .offset:         80
        .size:           8
        .value_kind:     hidden_global_offset_z
      - .offset:         88
        .size:           2
        .value_kind:     hidden_grid_dims
      - .offset:         144
        .size:           4
        .value_kind:     hidden_dynamic_lds_size
    .group_segment_fixed_size: 0
    .kernarg_segment_align: 8
    .kernarg_segment_size: 280
    .language:       OpenCL C
    .language_version:
      - 2
      - 0
    .max_flat_workgroup_size: 1024
    .name:           _Z21bit_rev_permutation_zPlPKlj
    .private_segment_fixed_size: 60
    .sgpr_count:     47
    .sgpr_spill_count: 0
    .symbol:         _Z21bit_rev_permutation_zPlPKlj.kd
    .uniform_work_group_size: 1
    .uses_dynamic_stack: false
    .vgpr_count:     192
    .vgpr_spill_count: 28
    .wavefront_size: 32
    .workgroup_processor_mode: 1
amdhsa.target:   amdgcn-amd-amdhsa--gfx1201
amdhsa.version:
  - 1
  - 2
...

	.end_amdgpu_metadata
